;; amdgpu-corpus repo=ROCm/rocFFT kind=compiled arch=gfx1201 opt=O3
	.text
	.amdgcn_target "amdgcn-amd-amdhsa--gfx1201"
	.amdhsa_code_object_version 6
	.protected	fft_rtc_back_len1350_factors_5_10_3_3_3_wgs_135_tpt_135_halfLds_half_ip_CI_unitstride_sbrr_C2R_dirReg ; -- Begin function fft_rtc_back_len1350_factors_5_10_3_3_3_wgs_135_tpt_135_halfLds_half_ip_CI_unitstride_sbrr_C2R_dirReg
	.globl	fft_rtc_back_len1350_factors_5_10_3_3_3_wgs_135_tpt_135_halfLds_half_ip_CI_unitstride_sbrr_C2R_dirReg
	.p2align	8
	.type	fft_rtc_back_len1350_factors_5_10_3_3_3_wgs_135_tpt_135_halfLds_half_ip_CI_unitstride_sbrr_C2R_dirReg,@function
fft_rtc_back_len1350_factors_5_10_3_3_3_wgs_135_tpt_135_halfLds_half_ip_CI_unitstride_sbrr_C2R_dirReg: ; @fft_rtc_back_len1350_factors_5_10_3_3_3_wgs_135_tpt_135_halfLds_half_ip_CI_unitstride_sbrr_C2R_dirReg
; %bb.0:
	s_clause 0x2
	s_load_b128 s[4:7], s[0:1], 0x0
	s_load_b64 s[8:9], s[0:1], 0x50
	s_load_b64 s[10:11], s[0:1], 0x18
	v_mul_u32_u24_e32 v1, 0x1e6, v0
	v_mov_b32_e32 v3, 0
	s_delay_alu instid0(VALU_DEP_2) | instskip(NEXT) | instid1(VALU_DEP_1)
	v_lshrrev_b32_e32 v1, 16, v1
	v_add_nc_u32_e32 v5, ttmp9, v1
	v_mov_b32_e32 v1, 0
	v_mov_b32_e32 v2, 0
	;; [unrolled: 1-line block ×3, first 2 shown]
	s_wait_kmcnt 0x0
	v_cmp_lt_u64_e64 s2, s[6:7], 2
	s_delay_alu instid0(VALU_DEP_1)
	s_and_b32 vcc_lo, exec_lo, s2
	s_cbranch_vccnz .LBB0_8
; %bb.1:
	s_load_b64 s[2:3], s[0:1], 0x10
	v_mov_b32_e32 v1, 0
	v_mov_b32_e32 v2, 0
	s_add_nc_u64 s[12:13], s[10:11], 8
	s_mov_b64 s[14:15], 1
	s_wait_kmcnt 0x0
	s_add_nc_u64 s[16:17], s[2:3], 8
	s_mov_b32 s3, 0
.LBB0_2:                                ; =>This Inner Loop Header: Depth=1
	s_load_b64 s[18:19], s[16:17], 0x0
                                        ; implicit-def: $vgpr7_vgpr8
	s_mov_b32 s2, exec_lo
	s_wait_kmcnt 0x0
	v_or_b32_e32 v4, s19, v6
	s_delay_alu instid0(VALU_DEP_1)
	v_cmpx_ne_u64_e32 0, v[3:4]
	s_wait_alu 0xfffe
	s_xor_b32 s20, exec_lo, s2
	s_cbranch_execz .LBB0_4
; %bb.3:                                ;   in Loop: Header=BB0_2 Depth=1
	s_cvt_f32_u32 s2, s18
	s_cvt_f32_u32 s21, s19
	s_sub_nc_u64 s[24:25], 0, s[18:19]
	s_wait_alu 0xfffe
	s_delay_alu instid0(SALU_CYCLE_1) | instskip(SKIP_1) | instid1(SALU_CYCLE_2)
	s_fmamk_f32 s2, s21, 0x4f800000, s2
	s_wait_alu 0xfffe
	v_s_rcp_f32 s2, s2
	s_delay_alu instid0(TRANS32_DEP_1) | instskip(SKIP_1) | instid1(SALU_CYCLE_2)
	s_mul_f32 s2, s2, 0x5f7ffffc
	s_wait_alu 0xfffe
	s_mul_f32 s21, s2, 0x2f800000
	s_wait_alu 0xfffe
	s_delay_alu instid0(SALU_CYCLE_2) | instskip(SKIP_1) | instid1(SALU_CYCLE_2)
	s_trunc_f32 s21, s21
	s_wait_alu 0xfffe
	s_fmamk_f32 s2, s21, 0xcf800000, s2
	s_cvt_u32_f32 s23, s21
	s_wait_alu 0xfffe
	s_delay_alu instid0(SALU_CYCLE_1) | instskip(SKIP_1) | instid1(SALU_CYCLE_2)
	s_cvt_u32_f32 s22, s2
	s_wait_alu 0xfffe
	s_mul_u64 s[26:27], s[24:25], s[22:23]
	s_wait_alu 0xfffe
	s_mul_hi_u32 s29, s22, s27
	s_mul_i32 s28, s22, s27
	s_mul_hi_u32 s2, s22, s26
	s_mul_i32 s30, s23, s26
	s_wait_alu 0xfffe
	s_add_nc_u64 s[28:29], s[2:3], s[28:29]
	s_mul_hi_u32 s21, s23, s26
	s_mul_hi_u32 s31, s23, s27
	s_add_co_u32 s2, s28, s30
	s_wait_alu 0xfffe
	s_add_co_ci_u32 s2, s29, s21
	s_mul_i32 s26, s23, s27
	s_add_co_ci_u32 s27, s31, 0
	s_wait_alu 0xfffe
	s_add_nc_u64 s[26:27], s[2:3], s[26:27]
	s_wait_alu 0xfffe
	v_add_co_u32 v4, s2, s22, s26
	s_delay_alu instid0(VALU_DEP_1) | instskip(SKIP_1) | instid1(VALU_DEP_1)
	s_cmp_lg_u32 s2, 0
	s_add_co_ci_u32 s23, s23, s27
	v_readfirstlane_b32 s22, v4
	s_wait_alu 0xfffe
	s_delay_alu instid0(VALU_DEP_1)
	s_mul_u64 s[24:25], s[24:25], s[22:23]
	s_wait_alu 0xfffe
	s_mul_hi_u32 s27, s22, s25
	s_mul_i32 s26, s22, s25
	s_mul_hi_u32 s2, s22, s24
	s_mul_i32 s28, s23, s24
	s_wait_alu 0xfffe
	s_add_nc_u64 s[26:27], s[2:3], s[26:27]
	s_mul_hi_u32 s21, s23, s24
	s_mul_hi_u32 s22, s23, s25
	s_wait_alu 0xfffe
	s_add_co_u32 s2, s26, s28
	s_add_co_ci_u32 s2, s27, s21
	s_mul_i32 s24, s23, s25
	s_add_co_ci_u32 s25, s22, 0
	s_wait_alu 0xfffe
	s_add_nc_u64 s[24:25], s[2:3], s[24:25]
	s_wait_alu 0xfffe
	v_add_co_u32 v4, s2, v4, s24
	s_delay_alu instid0(VALU_DEP_1) | instskip(SKIP_1) | instid1(VALU_DEP_1)
	s_cmp_lg_u32 s2, 0
	s_add_co_ci_u32 s2, s23, s25
	v_mul_hi_u32 v13, v5, v4
	s_wait_alu 0xfffe
	v_mad_co_u64_u32 v[7:8], null, v5, s2, 0
	v_mad_co_u64_u32 v[9:10], null, v6, v4, 0
	;; [unrolled: 1-line block ×3, first 2 shown]
	s_delay_alu instid0(VALU_DEP_3) | instskip(SKIP_1) | instid1(VALU_DEP_4)
	v_add_co_u32 v4, vcc_lo, v13, v7
	s_wait_alu 0xfffd
	v_add_co_ci_u32_e32 v7, vcc_lo, 0, v8, vcc_lo
	s_delay_alu instid0(VALU_DEP_2) | instskip(SKIP_1) | instid1(VALU_DEP_2)
	v_add_co_u32 v4, vcc_lo, v4, v9
	s_wait_alu 0xfffd
	v_add_co_ci_u32_e32 v4, vcc_lo, v7, v10, vcc_lo
	s_wait_alu 0xfffd
	v_add_co_ci_u32_e32 v7, vcc_lo, 0, v12, vcc_lo
	s_delay_alu instid0(VALU_DEP_2) | instskip(SKIP_1) | instid1(VALU_DEP_2)
	v_add_co_u32 v4, vcc_lo, v4, v11
	s_wait_alu 0xfffd
	v_add_co_ci_u32_e32 v9, vcc_lo, 0, v7, vcc_lo
	s_delay_alu instid0(VALU_DEP_2) | instskip(SKIP_1) | instid1(VALU_DEP_3)
	v_mul_lo_u32 v10, s19, v4
	v_mad_co_u64_u32 v[7:8], null, s18, v4, 0
	v_mul_lo_u32 v11, s18, v9
	s_delay_alu instid0(VALU_DEP_2) | instskip(NEXT) | instid1(VALU_DEP_2)
	v_sub_co_u32 v7, vcc_lo, v5, v7
	v_add3_u32 v8, v8, v11, v10
	s_delay_alu instid0(VALU_DEP_1) | instskip(SKIP_1) | instid1(VALU_DEP_1)
	v_sub_nc_u32_e32 v10, v6, v8
	s_wait_alu 0xfffd
	v_subrev_co_ci_u32_e64 v10, s2, s19, v10, vcc_lo
	v_add_co_u32 v11, s2, v4, 2
	s_wait_alu 0xf1ff
	v_add_co_ci_u32_e64 v12, s2, 0, v9, s2
	v_sub_co_u32 v13, s2, v7, s18
	v_sub_co_ci_u32_e32 v8, vcc_lo, v6, v8, vcc_lo
	s_wait_alu 0xf1ff
	v_subrev_co_ci_u32_e64 v10, s2, 0, v10, s2
	s_delay_alu instid0(VALU_DEP_3) | instskip(NEXT) | instid1(VALU_DEP_3)
	v_cmp_le_u32_e32 vcc_lo, s18, v13
	v_cmp_eq_u32_e64 s2, s19, v8
	s_wait_alu 0xfffd
	v_cndmask_b32_e64 v13, 0, -1, vcc_lo
	v_cmp_le_u32_e32 vcc_lo, s19, v10
	s_wait_alu 0xfffd
	v_cndmask_b32_e64 v14, 0, -1, vcc_lo
	v_cmp_le_u32_e32 vcc_lo, s18, v7
	;; [unrolled: 3-line block ×3, first 2 shown]
	s_wait_alu 0xfffd
	v_cndmask_b32_e64 v15, 0, -1, vcc_lo
	v_cmp_eq_u32_e32 vcc_lo, s19, v10
	s_wait_alu 0xf1ff
	s_delay_alu instid0(VALU_DEP_2)
	v_cndmask_b32_e64 v7, v15, v7, s2
	s_wait_alu 0xfffd
	v_cndmask_b32_e32 v10, v14, v13, vcc_lo
	v_add_co_u32 v13, vcc_lo, v4, 1
	s_wait_alu 0xfffd
	v_add_co_ci_u32_e32 v14, vcc_lo, 0, v9, vcc_lo
	s_delay_alu instid0(VALU_DEP_3) | instskip(SKIP_2) | instid1(VALU_DEP_3)
	v_cmp_ne_u32_e32 vcc_lo, 0, v10
	s_wait_alu 0xfffd
	v_cndmask_b32_e32 v10, v13, v11, vcc_lo
	v_cndmask_b32_e32 v8, v14, v12, vcc_lo
	v_cmp_ne_u32_e32 vcc_lo, 0, v7
	s_wait_alu 0xfffd
	s_delay_alu instid0(VALU_DEP_2)
	v_dual_cndmask_b32 v7, v4, v10 :: v_dual_cndmask_b32 v8, v9, v8
.LBB0_4:                                ;   in Loop: Header=BB0_2 Depth=1
	s_wait_alu 0xfffe
	s_and_not1_saveexec_b32 s2, s20
	s_cbranch_execz .LBB0_6
; %bb.5:                                ;   in Loop: Header=BB0_2 Depth=1
	v_cvt_f32_u32_e32 v4, s18
	s_sub_co_i32 s20, 0, s18
	s_delay_alu instid0(VALU_DEP_1) | instskip(NEXT) | instid1(TRANS32_DEP_1)
	v_rcp_iflag_f32_e32 v4, v4
	v_mul_f32_e32 v4, 0x4f7ffffe, v4
	s_delay_alu instid0(VALU_DEP_1) | instskip(SKIP_1) | instid1(VALU_DEP_1)
	v_cvt_u32_f32_e32 v4, v4
	s_wait_alu 0xfffe
	v_mul_lo_u32 v7, s20, v4
	s_delay_alu instid0(VALU_DEP_1) | instskip(NEXT) | instid1(VALU_DEP_1)
	v_mul_hi_u32 v7, v4, v7
	v_add_nc_u32_e32 v4, v4, v7
	s_delay_alu instid0(VALU_DEP_1) | instskip(NEXT) | instid1(VALU_DEP_1)
	v_mul_hi_u32 v4, v5, v4
	v_mul_lo_u32 v7, v4, s18
	v_add_nc_u32_e32 v8, 1, v4
	s_delay_alu instid0(VALU_DEP_2) | instskip(NEXT) | instid1(VALU_DEP_1)
	v_sub_nc_u32_e32 v7, v5, v7
	v_subrev_nc_u32_e32 v9, s18, v7
	v_cmp_le_u32_e32 vcc_lo, s18, v7
	s_wait_alu 0xfffd
	s_delay_alu instid0(VALU_DEP_2) | instskip(NEXT) | instid1(VALU_DEP_1)
	v_dual_cndmask_b32 v7, v7, v9 :: v_dual_cndmask_b32 v4, v4, v8
	v_cmp_le_u32_e32 vcc_lo, s18, v7
	s_delay_alu instid0(VALU_DEP_2) | instskip(SKIP_1) | instid1(VALU_DEP_1)
	v_add_nc_u32_e32 v8, 1, v4
	s_wait_alu 0xfffd
	v_dual_cndmask_b32 v7, v4, v8 :: v_dual_mov_b32 v8, v3
.LBB0_6:                                ;   in Loop: Header=BB0_2 Depth=1
	s_wait_alu 0xfffe
	s_or_b32 exec_lo, exec_lo, s2
	s_load_b64 s[20:21], s[12:13], 0x0
	s_delay_alu instid0(VALU_DEP_1)
	v_mul_lo_u32 v4, v8, s18
	v_mul_lo_u32 v11, v7, s19
	v_mad_co_u64_u32 v[9:10], null, v7, s18, 0
	s_add_nc_u64 s[14:15], s[14:15], 1
	s_add_nc_u64 s[12:13], s[12:13], 8
	s_wait_alu 0xfffe
	v_cmp_ge_u64_e64 s2, s[14:15], s[6:7]
	s_add_nc_u64 s[16:17], s[16:17], 8
	s_delay_alu instid0(VALU_DEP_2) | instskip(NEXT) | instid1(VALU_DEP_3)
	v_add3_u32 v4, v10, v11, v4
	v_sub_co_u32 v5, vcc_lo, v5, v9
	s_wait_alu 0xfffd
	s_delay_alu instid0(VALU_DEP_2) | instskip(SKIP_3) | instid1(VALU_DEP_2)
	v_sub_co_ci_u32_e32 v4, vcc_lo, v6, v4, vcc_lo
	s_and_b32 vcc_lo, exec_lo, s2
	s_wait_kmcnt 0x0
	v_mul_lo_u32 v6, s21, v5
	v_mul_lo_u32 v4, s20, v4
	v_mad_co_u64_u32 v[1:2], null, s20, v5, v[1:2]
	s_delay_alu instid0(VALU_DEP_1)
	v_add3_u32 v2, v6, v2, v4
	s_wait_alu 0xfffe
	s_cbranch_vccnz .LBB0_9
; %bb.7:                                ;   in Loop: Header=BB0_2 Depth=1
	v_dual_mov_b32 v5, v7 :: v_dual_mov_b32 v6, v8
	s_branch .LBB0_2
.LBB0_8:
	v_dual_mov_b32 v8, v6 :: v_dual_mov_b32 v7, v5
.LBB0_9:
	s_lshl_b64 s[2:3], s[6:7], 3
	v_mul_hi_u32 v5, 0x1e573ad, v0
	s_wait_alu 0xfffe
	s_add_nc_u64 s[2:3], s[10:11], s[2:3]
	s_load_b64 s[2:3], s[2:3], 0x0
	s_load_b64 s[0:1], s[0:1], 0x20
	s_wait_kmcnt 0x0
	v_mul_lo_u32 v3, s2, v8
	v_mul_lo_u32 v4, s3, v7
	v_mad_co_u64_u32 v[1:2], null, s2, v7, v[1:2]
	v_cmp_gt_u64_e32 vcc_lo, s[0:1], v[7:8]
	s_delay_alu instid0(VALU_DEP_2) | instskip(SKIP_1) | instid1(VALU_DEP_2)
	v_add3_u32 v2, v4, v2, v3
	v_mul_u32_u24_e32 v4, 0x87, v5
	v_lshlrev_b64_e32 v[2:3], 2, v[1:2]
	s_delay_alu instid0(VALU_DEP_2)
	v_sub_nc_u32_e32 v0, v0, v4
	s_and_saveexec_b32 s1, vcc_lo
	s_cbranch_execz .LBB0_13
; %bb.10:
	v_mov_b32_e32 v1, 0
	s_delay_alu instid0(VALU_DEP_3) | instskip(SKIP_2) | instid1(VALU_DEP_3)
	v_add_co_u32 v4, s0, s8, v2
	s_wait_alu 0xf1ff
	v_add_co_ci_u32_e64 v5, s0, s9, v3, s0
	v_lshlrev_b64_e32 v[6:7], 2, v[0:1]
	s_mov_b32 s2, exec_lo
	s_delay_alu instid0(VALU_DEP_1) | instskip(SKIP_1) | instid1(VALU_DEP_2)
	v_add_co_u32 v6, s0, v4, v6
	s_wait_alu 0xf1ff
	v_add_co_ci_u32_e64 v7, s0, v5, v7, s0
	s_clause 0x9
	global_load_b32 v8, v[6:7], off
	global_load_b32 v9, v[6:7], off offset:540
	global_load_b32 v10, v[6:7], off offset:1080
	;; [unrolled: 1-line block ×9, first 2 shown]
	v_lshl_add_u32 v7, v0, 2, 0
	s_delay_alu instid0(VALU_DEP_1)
	v_add_nc_u32_e32 v18, 0x800, v7
	v_add_nc_u32_e32 v17, 0x400, v7
	;; [unrolled: 1-line block ×4, first 2 shown]
	s_wait_loadcnt 0x8
	ds_store_2addr_b32 v7, v8, v9 offset1:135
	s_wait_loadcnt 0x6
	ds_store_2addr_b32 v17, v10, v11 offset0:14 offset1:149
	s_wait_loadcnt 0x4
	ds_store_2addr_b32 v18, v12, v13 offset0:28 offset1:163
	;; [unrolled: 2-line block ×4, first 2 shown]
	v_cmpx_eq_u32_e32 0x86, v0
	s_cbranch_execz .LBB0_12
; %bb.11:
	global_load_b32 v4, v[4:5], off offset:5400
	v_mov_b32_e32 v0, 0x86
	s_wait_loadcnt 0x0
	ds_store_b32 v1, v4 offset:5400
.LBB0_12:
	s_wait_alu 0xfffe
	s_or_b32 exec_lo, exec_lo, s2
.LBB0_13:
	s_wait_alu 0xfffe
	s_or_b32 exec_lo, exec_lo, s1
	v_lshlrev_b32_e32 v1, 2, v0
	global_wb scope:SCOPE_SE
	s_wait_dscnt 0x0
	s_barrier_signal -1
	s_barrier_wait -1
	global_inv scope:SCOPE_SE
	v_add_nc_u32_e32 v14, 0, v1
	v_sub_nc_u32_e32 v6, 0, v1
	s_mov_b32 s1, exec_lo
                                        ; implicit-def: $vgpr4_vgpr5
	ds_load_u16 v9, v14
	ds_load_u16 v10, v6 offset:5400
	s_wait_dscnt 0x0
	v_add_f16_e32 v8, v10, v9
	v_sub_f16_e32 v7, v9, v10
	v_cmpx_ne_u32_e32 0, v0
	s_wait_alu 0xfffe
	s_xor_b32 s1, exec_lo, s1
	s_cbranch_execz .LBB0_15
; %bb.14:
	v_mov_b32_e32 v1, 0
	v_add_f16_e32 v8, v10, v9
	v_sub_f16_e32 v9, v9, v10
	s_delay_alu instid0(VALU_DEP_3) | instskip(NEXT) | instid1(VALU_DEP_1)
	v_lshlrev_b64_e32 v[4:5], 2, v[0:1]
	v_add_co_u32 v4, s0, s4, v4
	s_wait_alu 0xf1ff
	s_delay_alu instid0(VALU_DEP_2)
	v_add_co_ci_u32_e64 v5, s0, s5, v5, s0
	global_load_b32 v4, v[4:5], off offset:5380
	ds_load_u16 v5, v6 offset:5402
	ds_load_u16 v7, v14 offset:2
	s_wait_dscnt 0x0
	v_add_f16_e32 v10, v5, v7
	v_sub_f16_e32 v5, v7, v5
	s_wait_loadcnt 0x0
	v_lshrrev_b32_e32 v11, 16, v4
	s_delay_alu instid0(VALU_DEP_1) | instskip(NEXT) | instid1(VALU_DEP_3)
	v_fma_f16 v12, -v9, v11, v8
	v_fma_f16 v13, v10, v11, -v5
	v_fma_f16 v7, v10, v11, v5
	v_fma_f16 v8, v9, v11, v8
	s_delay_alu instid0(VALU_DEP_4) | instskip(NEXT) | instid1(VALU_DEP_4)
	v_fmac_f16_e32 v12, v4, v10
	v_fmac_f16_e32 v13, v9, v4
	s_delay_alu instid0(VALU_DEP_4) | instskip(NEXT) | instid1(VALU_DEP_4)
	v_fmac_f16_e32 v7, v9, v4
	v_fma_f16 v8, -v4, v10, v8
	v_dual_mov_b32 v5, v1 :: v_dual_mov_b32 v4, v0
	s_delay_alu instid0(VALU_DEP_4)
	v_pack_b32_f16 v9, v12, v13
	ds_store_b32 v6, v9 offset:5400
.LBB0_15:
	s_wait_alu 0xfffe
	s_and_not1_saveexec_b32 s0, s1
	s_cbranch_execz .LBB0_17
; %bb.16:
	v_mov_b32_e32 v1, 0
	ds_load_b32 v4, v1 offset:2700
	s_wait_dscnt 0x0
	v_pk_mul_f16 v9, 0xc0004000, v4
	v_mov_b32_e32 v4, 0
	v_mov_b32_e32 v5, 0
	ds_store_b32 v1, v9 offset:2700
.LBB0_17:
	s_wait_alu 0xfffe
	s_or_b32 exec_lo, exec_lo, s0
	v_lshlrev_b64_e32 v[4:5], 2, v[4:5]
	s_add_nc_u64 s[0:1], s[4:5], 0x1504
	v_add_nc_u32_e32 v21, 0x1000, v14
	s_wait_alu 0xfffe
	s_delay_alu instid0(VALU_DEP_2)
	v_add_co_u32 v4, s0, s0, v4
	s_wait_alu 0xf1ff
	v_add_co_ci_u32_e64 v5, s0, s1, v5, s0
	v_cmp_gt_u32_e64 s0, 45, v0
	s_clause 0x3
	global_load_b32 v1, v[4:5], off offset:540
	global_load_b32 v9, v[4:5], off offset:1080
	;; [unrolled: 1-line block ×4, first 2 shown]
	v_perm_b32 v5, v7, v8, 0x5040100
	ds_store_b32 v14, v5
	ds_load_b32 v5, v14 offset:540
	ds_load_b32 v7, v6 offset:4860
	s_wait_dscnt 0x1
	v_lshrrev_b32_e32 v8, 16, v5
	s_wait_dscnt 0x0
	v_lshrrev_b32_e32 v11, 16, v7
	v_add_f16_e32 v12, v5, v7
	v_sub_f16_e32 v5, v5, v7
	s_delay_alu instid0(VALU_DEP_3) | instskip(SKIP_3) | instid1(VALU_DEP_1)
	v_add_f16_e32 v7, v11, v8
	v_sub_f16_e32 v8, v8, v11
	s_wait_loadcnt 0x3
	v_lshrrev_b32_e32 v13, 16, v1
	v_fma_f16 v11, v5, v13, v12
	s_delay_alu instid0(VALU_DEP_3) | instskip(SKIP_2) | instid1(VALU_DEP_4)
	v_fma_f16 v15, v7, v13, v8
	v_fma_f16 v12, -v5, v13, v12
	v_fma_f16 v8, v7, v13, -v8
	v_fma_f16 v11, -v1, v7, v11
	s_delay_alu instid0(VALU_DEP_4) | instskip(NEXT) | instid1(VALU_DEP_4)
	v_fmac_f16_e32 v15, v5, v1
	v_fmac_f16_e32 v12, v1, v7
	s_delay_alu instid0(VALU_DEP_4) | instskip(NEXT) | instid1(VALU_DEP_3)
	v_fmac_f16_e32 v8, v5, v1
	v_pack_b32_f16 v1, v11, v15
	s_wait_loadcnt 0x2
	v_lshrrev_b32_e32 v11, 16, v9
	s_delay_alu instid0(VALU_DEP_3)
	v_pack_b32_f16 v5, v12, v8
	ds_store_b32 v14, v1 offset:540
	ds_store_b32 v6, v5 offset:4860
	ds_load_b32 v1, v14 offset:1080
	ds_load_b32 v5, v6 offset:4320
	s_wait_dscnt 0x1
	v_lshrrev_b32_e32 v7, 16, v1
	s_wait_dscnt 0x0
	v_lshrrev_b32_e32 v8, 16, v5
	v_add_f16_e32 v12, v1, v5
	v_sub_f16_e32 v1, v1, v5
	s_delay_alu instid0(VALU_DEP_3) | instskip(SKIP_1) | instid1(VALU_DEP_3)
	v_add_f16_e32 v5, v8, v7
	v_sub_f16_e32 v7, v7, v8
	v_fma_f16 v8, v1, v11, v12
	v_fma_f16 v12, -v1, v11, v12
	s_delay_alu instid0(VALU_DEP_3) | instskip(SKIP_1) | instid1(VALU_DEP_4)
	v_fma_f16 v13, v5, v11, v7
	v_fma_f16 v7, v5, v11, -v7
	v_fma_f16 v8, -v9, v5, v8
	s_delay_alu instid0(VALU_DEP_4) | instskip(NEXT) | instid1(VALU_DEP_4)
	v_fmac_f16_e32 v12, v9, v5
	v_fmac_f16_e32 v13, v1, v9
	s_delay_alu instid0(VALU_DEP_4) | instskip(SKIP_2) | instid1(VALU_DEP_3)
	v_fmac_f16_e32 v7, v1, v9
	s_wait_loadcnt 0x1
	v_lshrrev_b32_e32 v9, 16, v10
	v_pack_b32_f16 v1, v8, v13
	s_delay_alu instid0(VALU_DEP_3)
	v_pack_b32_f16 v5, v12, v7
	ds_store_b32 v14, v1 offset:1080
	ds_store_b32 v6, v5 offset:4320
	ds_load_b32 v1, v14 offset:1620
	ds_load_b32 v5, v6 offset:3780
	s_wait_dscnt 0x1
	v_lshrrev_b32_e32 v7, 16, v1
	s_wait_dscnt 0x0
	v_lshrrev_b32_e32 v8, 16, v5
	v_add_f16_e32 v11, v1, v5
	v_sub_f16_e32 v1, v1, v5
	s_delay_alu instid0(VALU_DEP_3) | instskip(SKIP_1) | instid1(VALU_DEP_3)
	v_add_f16_e32 v5, v8, v7
	v_sub_f16_e32 v7, v7, v8
	v_fma_f16 v8, v1, v9, v11
	v_fma_f16 v11, -v1, v9, v11
	s_delay_alu instid0(VALU_DEP_3) | instskip(SKIP_1) | instid1(VALU_DEP_4)
	v_fma_f16 v12, v5, v9, v7
	v_fma_f16 v7, v5, v9, -v7
	v_fma_f16 v8, -v10, v5, v8
	s_delay_alu instid0(VALU_DEP_4) | instskip(NEXT) | instid1(VALU_DEP_4)
	v_fmac_f16_e32 v11, v10, v5
	v_fmac_f16_e32 v12, v1, v10
	s_delay_alu instid0(VALU_DEP_4) | instskip(SKIP_2) | instid1(VALU_DEP_3)
	v_fmac_f16_e32 v7, v1, v10
	s_wait_loadcnt 0x0
	v_lshrrev_b32_e32 v10, 16, v4
	v_pack_b32_f16 v1, v8, v12
	s_delay_alu instid0(VALU_DEP_3)
	v_pack_b32_f16 v5, v11, v7
	ds_store_b32 v14, v1 offset:1620
	ds_store_b32 v6, v5 offset:3780
	ds_load_b32 v5, v14 offset:2160
	ds_load_b32 v7, v6 offset:3240
	v_and_b32_e32 v1, 0xff, v0
	s_wait_dscnt 0x1
	v_lshrrev_b32_e32 v8, 16, v5
	s_wait_dscnt 0x0
	v_lshrrev_b32_e32 v9, 16, v7
	v_add_f16_e32 v11, v5, v7
	v_sub_f16_e32 v5, v5, v7
	s_delay_alu instid0(VALU_DEP_3) | instskip(SKIP_2) | instid1(VALU_DEP_4)
	v_add_f16_e32 v7, v9, v8
	v_sub_f16_e32 v8, v8, v9
	v_mul_lo_u16 v9, 0xcd, v1
	v_fma_f16 v12, v5, v10, v11
	v_fma_f16 v11, -v5, v10, v11
	s_delay_alu instid0(VALU_DEP_4)
	v_fma_f16 v13, v7, v10, v8
	v_fma_f16 v10, v7, v10, -v8
	v_lshrrev_b16 v23, 10, v9
	v_fma_f16 v9, -v4, v7, v12
	v_fmac_f16_e32 v11, v4, v7
	v_fmac_f16_e32 v13, v5, v4
	;; [unrolled: 1-line block ×3, first 2 shown]
	v_mul_lo_u16 v5, v23, 5
	v_add_nc_u32_e32 v4, 0x400, v14
	v_add_nc_u32_e32 v8, 0x800, v14
	v_pack_b32_f16 v7, v9, v13
	v_pack_b32_f16 v9, v11, v10
	v_add_nc_u32_e32 v13, 0xc00, v14
	v_sub_nc_u16 v19, v0, v5
	ds_store_b32 v14, v7 offset:2160
	ds_store_b32 v6, v9 offset:3240
	global_wb scope:SCOPE_SE
	s_wait_dscnt 0x0
	s_barrier_signal -1
	s_barrier_wait -1
	global_inv scope:SCOPE_SE
	global_wb scope:SCOPE_SE
	s_barrier_signal -1
	s_barrier_wait -1
	global_inv scope:SCOPE_SE
	ds_load_2addr_b32 v[5:6], v14 offset1:135
	ds_load_2addr_b32 v[9:10], v4 offset0:14 offset1:149
	ds_load_2addr_b32 v[11:12], v8 offset0:28 offset1:163
	;; [unrolled: 1-line block ×4, first 2 shown]
	v_and_b32_e32 v7, 0xff, v19
	v_lshl_add_u32 v19, v0, 4, v14
	global_wb scope:SCOPE_SE
	s_wait_dscnt 0x0
	s_barrier_signal -1
	s_barrier_wait -1
	v_mul_u32_u24_e32 v20, 9, v7
	v_add_nc_u32_e32 v22, 0xa8c, v19
	v_add_nc_u32_e32 v24, 0xa94, v19
	global_inv scope:SCOPE_SE
	v_lshlrev_b32_e32 v7, 2, v7
	v_lshlrev_b32_e32 v20, 2, v20
	v_pk_add_f16 v25, v5, v9
	v_pk_add_f16 v29, v9, v11 neg_lo:[0,1] neg_hi:[0,1]
	v_pk_add_f16 v26, v11, v15
	v_pk_add_f16 v27, v9, v17 neg_lo:[0,1] neg_hi:[0,1]
	v_pk_add_f16 v28, v11, v15 neg_lo:[0,1] neg_hi:[0,1]
	;; [unrolled: 1-line block ×3, first 2 shown]
	v_pk_add_f16 v31, v9, v17
	v_pk_add_f16 v33, v6, v10
	;; [unrolled: 1-line block ×3, first 2 shown]
	v_pk_add_f16 v35, v10, v18 neg_lo:[0,1] neg_hi:[0,1]
	v_pk_add_f16 v36, v12, v16 neg_lo:[0,1] neg_hi:[0,1]
	v_pk_add_f16 v39, v10, v18
	v_pk_add_f16 v9, v11, v9 neg_lo:[0,1] neg_hi:[0,1]
	v_pk_add_f16 v32, v15, v17 neg_lo:[0,1] neg_hi:[0,1]
	;; [unrolled: 1-line block ×4, first 2 shown]
	v_pk_add_f16 v11, v25, v11
	v_pk_fma_f16 v25, v26, 0.5, v5 op_sel_hi:[1,0,1] neg_lo:[1,0,0] neg_hi:[1,0,0]
	v_pk_mul_f16 v26, 0x3b9c, v27 op_sel_hi:[0,1]
	v_pk_mul_f16 v41, 0x38b4, v28 op_sel_hi:[0,1]
	v_pk_add_f16 v29, v29, v30
	v_pk_fma_f16 v5, v31, 0.5, v5 op_sel_hi:[1,0,1] neg_lo:[1,0,0] neg_hi:[1,0,0]
	v_pk_mul_f16 v28, 0x3b9c, v28 op_sel_hi:[0,1]
	v_pk_add_f16 v12, v33, v12
	v_pk_fma_f16 v30, v34, 0.5, v6 op_sel_hi:[1,0,1] neg_lo:[1,0,0] neg_hi:[1,0,0]
	v_pk_mul_f16 v31, 0x3b9c, v35 op_sel_hi:[0,1]
	v_pk_fma_f16 v6, v39, 0.5, v6 op_sel_hi:[1,0,1] neg_lo:[1,0,0] neg_hi:[1,0,0]
	v_pk_mul_f16 v34, 0x3b9c, v36 op_sel_hi:[0,1]
	v_pk_add_f16 v38, v18, v16 neg_lo:[0,1] neg_hi:[0,1]
	v_pk_add_f16 v40, v16, v18 neg_lo:[0,1] neg_hi:[0,1]
	v_pk_add_f16 v9, v9, v32
	v_pk_mul_f16 v32, 0x38b4, v36 op_sel_hi:[0,1]
	v_pk_add_f16 v11, v11, v15
	v_pk_add_f16 v15, v25, v26 op_sel:[0,1] op_sel_hi:[1,0] neg_lo:[0,1] neg_hi:[0,1]
	v_pk_add_f16 v25, v25, v26 op_sel:[0,1] op_sel_hi:[1,0]
	v_pk_add_f16 v26, v5, v28 op_sel:[0,1] op_sel_hi:[1,0]
	v_pk_add_f16 v5, v5, v28 op_sel:[0,1] op_sel_hi:[1,0] neg_lo:[0,1] neg_hi:[0,1]
	v_pk_add_f16 v12, v12, v16
	v_pk_add_f16 v16, v30, v31 op_sel:[0,1] op_sel_hi:[1,0] neg_lo:[0,1] neg_hi:[0,1]
	v_pk_add_f16 v28, v30, v31 op_sel:[0,1] op_sel_hi:[1,0]
	v_pk_mul_f16 v27, 0x38b4, v27 op_sel_hi:[0,1]
	v_pk_mul_f16 v35, 0x38b4, v35 op_sel_hi:[0,1]
	v_pk_add_f16 v30, v6, v34 op_sel:[0,1] op_sel_hi:[1,0]
	v_pk_add_f16 v6, v6, v34 op_sel:[0,1] op_sel_hi:[1,0] neg_lo:[0,1] neg_hi:[0,1]
	v_pk_add_f16 v11, v11, v17
	v_pk_add_f16 v15, v15, v41 op_sel:[0,1] op_sel_hi:[1,0] neg_lo:[0,1] neg_hi:[0,1]
	v_pk_add_f16 v17, v25, v41 op_sel:[0,1] op_sel_hi:[1,0]
	v_pk_add_f16 v12, v12, v18
	v_pk_add_f16 v16, v16, v32 op_sel:[0,1] op_sel_hi:[1,0] neg_lo:[0,1] neg_hi:[0,1]
	v_pk_add_f16 v18, v28, v32 op_sel:[0,1] op_sel_hi:[1,0]
	v_pk_add_f16 v25, v26, v27 op_sel:[0,1] op_sel_hi:[1,0] neg_lo:[0,1] neg_hi:[0,1]
	v_pk_add_f16 v5, v5, v27 op_sel:[0,1] op_sel_hi:[1,0]
	;; [unrolled: 2-line block ×3, first 2 shown]
	v_pk_add_f16 v33, v37, v38
	v_bfi_b32 v27, 0xffff, v15, v17
	v_bfi_b32 v15, 0xffff, v17, v15
	;; [unrolled: 1-line block ×3, first 2 shown]
	v_pk_add_f16 v10, v10, v40
	v_bfi_b32 v28, 0xffff, v25, v5
	v_bfi_b32 v5, 0xffff, v5, v25
	;; [unrolled: 1-line block ×5, first 2 shown]
	v_pk_fma_f16 v17, 0x34f2, v33, v17 op_sel_hi:[0,1,1]
	v_pk_fma_f16 v18, 0x34f2, v29, v27 op_sel_hi:[0,1,1]
	;; [unrolled: 1-line block ×8, first 2 shown]
	ds_store_2addr_b32 v22, v12, v17 offset1:1
	ds_store_2addr_b32 v24, v25, v6 offset1:1
	;; [unrolled: 1-line block ×3, first 2 shown]
	ds_store_2addr_b32 v19, v26, v5 offset0:2 offset1:3
	ds_store_b32 v19, v9 offset:16
	ds_store_b32 v19, v10 offset:2716
	global_wb scope:SCOPE_SE
	s_wait_dscnt 0x0
	s_barrier_signal -1
	s_barrier_wait -1
	global_inv scope:SCOPE_SE
	s_clause 0x2
	global_load_b128 v[9:12], v20, s[4:5]
	global_load_b128 v[15:18], v20, s[4:5] offset:16
	global_load_b32 v27, v20, s[4:5] offset:32
	ds_load_2addr_b32 v[5:6], v14 offset1:135
	ds_load_2addr_b32 v[19:20], v13 offset0:42 offset1:177
	ds_load_2addr_b32 v[21:22], v21 offset0:56 offset1:191
	v_and_b32_e32 v13, 0xffff, v23
	ds_load_2addr_b32 v[23:24], v4 offset0:14 offset1:149
	ds_load_2addr_b32 v[25:26], v8 offset0:28 offset1:163
	v_add_nc_u32_e32 v28, 0xe00, v14
	global_wb scope:SCOPE_SE
	s_wait_loadcnt_dscnt 0x0
	s_barrier_signal -1
	v_mul_u32_u24_e32 v13, 0xc8, v13
	s_barrier_wait -1
	global_inv scope:SCOPE_SE
	v_add3_u32 v7, 0, v13, v7
	v_lshrrev_b32_e32 v33, 16, v6
	v_lshrrev_b32_e32 v29, 16, v19
	;; [unrolled: 1-line block ×19, first 2 shown]
	v_mul_f16_e32 v47, v38, v33
	v_mul_f16_e32 v38, v38, v6
	;; [unrolled: 1-line block ×18, first 2 shown]
	v_fmac_f16_e32 v47, v9, v6
	v_fma_f16 v6, v9, v33, -v38
	v_fmac_f16_e32 v48, v10, v23
	v_fma_f16 v9, v10, v34, -v39
	;; [unrolled: 2-line block ×8, first 2 shown]
	v_fma_f16 v18, v32, v27, -v46
	v_fmac_f16_e32 v55, v22, v27
	v_add_f16_e32 v19, v5, v48
	v_sub_f16_e32 v23, v48, v50
	v_sub_f16_e32 v24, v54, v52
	v_add_f16_e32 v25, v48, v54
	v_sub_f16_e32 v26, v50, v48
	v_sub_f16_e32 v27, v52, v54
	;; [unrolled: 1-line block ×5, first 2 shown]
	v_add_f16_e32 v46, v6, v10
	v_add_f16_e32 v48, v12, v16
	;; [unrolled: 1-line block ×6, first 2 shown]
	v_sub_f16_e32 v39, v10, v18
	v_sub_f16_e32 v40, v12, v16
	;; [unrolled: 1-line block ×3, first 2 shown]
	v_add_f16_e32 v43, v49, v55
	v_sub_f16_e32 v44, v51, v49
	v_sub_f16_e32 v49, v49, v55
	;; [unrolled: 1-line block ×4, first 2 shown]
	v_add_f16_e32 v23, v23, v24
	v_add_f16_e32 v24, v26, v27
	;; [unrolled: 1-line block ×4, first 2 shown]
	v_fma_f16 v34, -0.5, v48, v6
	v_add_f16_e32 v20, v50, v52
	v_add_f16_e32 v30, v11, v15
	;; [unrolled: 1-line block ×3, first 2 shown]
	v_sub_f16_e32 v56, v51, v53
	v_fmac_f16_e32 v6, -0.5, v59
	v_sub_f16_e32 v21, v9, v17
	v_sub_f16_e32 v22, v11, v15
	;; [unrolled: 1-line block ×6, first 2 shown]
	v_add_f16_e32 v11, v29, v11
	v_fma_f16 v29, -0.5, v38, v47
	v_add_f16_e32 v12, v12, v16
	v_fmamk_f16 v16, v49, 0x3b9c, v34
	v_sub_f16_e32 v32, v50, v52
	v_add_f16_e32 v19, v19, v50
	v_fma_f16 v20, -0.5, v20, v5
	v_fmac_f16_e32 v5, -0.5, v25
	v_fma_f16 v25, -0.5, v30, v13
	v_fmac_f16_e32 v13, -0.5, v35
	v_add_f16_e32 v27, v37, v51
	v_fmac_f16_e32 v47, -0.5, v43
	v_fmamk_f16 v43, v56, 0xbb9c, v6
	v_fmac_f16_e32 v6, 0x3b9c, v56
	v_sub_f16_e32 v36, v15, v17
	v_fmac_f16_e32 v34, 0xbb9c, v49
	v_add_f16_e32 v30, v41, v42
	v_add_f16_e32 v35, v57, v58
	;; [unrolled: 1-line block ×3, first 2 shown]
	v_fmamk_f16 v41, v39, 0xbb9c, v29
	v_fmac_f16_e32 v16, 0x38b4, v56
	v_sub_f16_e32 v45, v53, v55
	v_add_f16_e32 v10, v10, v60
	v_add_f16_e32 v19, v19, v52
	v_fmamk_f16 v38, v32, 0xbb9c, v13
	v_fmac_f16_e32 v13, 0x3b9c, v32
	v_add_f16_e32 v27, v27, v53
	v_fmamk_f16 v42, v40, 0x3b9c, v47
	v_fmac_f16_e32 v47, 0xbb9c, v40
	v_fmac_f16_e32 v43, 0x38b4, v49
	;; [unrolled: 1-line block ×3, first 2 shown]
	v_add_f16_e32 v9, v9, v36
	v_fmamk_f16 v36, v21, 0xbb9c, v20
	v_fmac_f16_e32 v20, 0x3b9c, v21
	v_fmac_f16_e32 v29, 0x3b9c, v39
	;; [unrolled: 1-line block ×3, first 2 shown]
	v_fmamk_f16 v15, v31, 0x3b9c, v25
	v_add_f16_e32 v11, v11, v17
	v_fmac_f16_e32 v41, 0xb8b4, v40
	v_add_f16_e32 v12, v12, v18
	v_fmac_f16_e32 v16, 0x34f2, v35
	v_add_f16_e32 v33, v44, v45
	v_fmamk_f16 v37, v22, 0x3b9c, v5
	v_fmac_f16_e32 v5, 0xbb9c, v22
	v_add_f16_e32 v19, v19, v54
	v_fmac_f16_e32 v38, 0x38b4, v31
	v_fmac_f16_e32 v13, 0xb8b4, v31
	v_add_f16_e32 v17, v27, v55
	v_fmac_f16_e32 v42, 0xb8b4, v39
	v_fmac_f16_e32 v47, 0x38b4, v39
	;; [unrolled: 1-line block ×11, first 2 shown]
	v_add_f16_e32 v10, v11, v12
	v_sub_f16_e32 v11, v11, v12
	v_mul_f16_e32 v12, 0xb8b4, v16
	v_mul_f16_e32 v16, 0x3a79, v16
	v_fmac_f16_e32 v37, 0xb8b4, v21
	v_fmac_f16_e32 v5, 0x38b4, v21
	v_fmac_f16_e32 v38, 0x34f2, v9
	v_fmac_f16_e32 v13, 0x34f2, v9
	v_fmac_f16_e32 v42, 0x34f2, v33
	v_fmac_f16_e32 v47, 0x34f2, v33
	v_add_f16_e32 v9, v19, v17
	v_sub_f16_e32 v17, v19, v17
	v_mul_f16_e32 v18, 0xbb9c, v43
	v_mul_f16_e32 v19, 0xbb9c, v6
	;; [unrolled: 1-line block ×4, first 2 shown]
	v_fmac_f16_e32 v25, 0xb8b4, v32
	v_fmac_f16_e32 v36, 0x34f2, v23
	;; [unrolled: 1-line block ×4, first 2 shown]
	v_mul_f16_e32 v21, 0xb8b4, v34
	v_mul_f16_e32 v23, 0xba79, v34
	v_fmac_f16_e32 v15, 0x34f2, v26
	v_fmac_f16_e32 v12, 0x3a79, v41
	;; [unrolled: 1-line block ×12, first 2 shown]
	v_pack_b32_f16 v9, v9, v10
	v_pack_b32_f16 v10, v17, v11
	v_add_f16_e32 v11, v36, v12
	v_add_f16_e32 v27, v15, v16
	;; [unrolled: 1-line block ×8, first 2 shown]
	v_sub_f16_e32 v12, v36, v12
	v_sub_f16_e32 v32, v37, v18
	;; [unrolled: 1-line block ×8, first 2 shown]
	v_pack_b32_f16 v11, v11, v27
	v_pack_b32_f16 v13, v17, v29
	;; [unrolled: 1-line block ×8, first 2 shown]
	ds_store_2addr_b32 v7, v9, v11 offset1:5
	ds_store_2addr_b32 v7, v13, v17 offset0:10 offset1:15
	ds_store_2addr_b32 v7, v19, v10 offset0:20 offset1:25
	;; [unrolled: 1-line block ×4, first 2 shown]
	global_wb scope:SCOPE_SE
	s_wait_dscnt 0x0
	s_barrier_signal -1
	s_barrier_wait -1
	global_inv scope:SCOPE_SE
	ds_load_2addr_b32 v[6:7], v14 offset1:135
	ds_load_2addr_b32 v[4:5], v4 offset0:14 offset1:194
	ds_load_2addr_b32 v[10:11], v28 offset0:4 offset1:139
	ds_load_2addr_b32 v[8:9], v8 offset0:73 offset1:208
	ds_load_b32 v12, v14 offset:4680
                                        ; implicit-def: $vgpr17
                                        ; implicit-def: $vgpr13
                                        ; implicit-def: $vgpr23
                                        ; implicit-def: $vgpr19
	s_and_saveexec_b32 s1, s0
	s_cbranch_execz .LBB0_19
; %bb.18:
	ds_load_b32 v18, v14 offset:1620
	ds_load_b32 v13, v14 offset:5220
	;; [unrolled: 1-line block ×3, first 2 shown]
	s_wait_dscnt 0x2
	v_lshrrev_b32_e32 v20, 16, v18
	s_wait_dscnt 0x1
	v_lshrrev_b32_e32 v17, 16, v13
	;; [unrolled: 2-line block ×3, first 2 shown]
.LBB0_19:
	s_wait_alu 0xfffe
	s_or_b32 exec_lo, exec_lo, s1
	v_add_nc_u32_e32 v16, 0x87, v0
	v_mul_lo_u16 v21, v1, 41
	v_add_nc_u32_e32 v15, 0x10e, v0
	v_add_nc_u32_e32 v1, 0x195, v0
	s_wait_dscnt 0x3
	v_lshrrev_b32_e32 v42, 16, v5
	v_lshrrev_b16 v22, 1, v16
	v_lshrrev_b16 v24, 11, v21
	v_lshrrev_b16 v21, 1, v15
	v_lshrrev_b16 v25, 1, v1
	s_wait_dscnt 0x2
	v_lshrrev_b32_e32 v43, 16, v10
	v_and_b32_e32 v26, 0xffff, v22
	v_mul_lo_u16 v27, v24, 50
	v_and_b32_e32 v22, 0xffff, v21
	v_and_b32_e32 v21, 0xffff, v25
	;; [unrolled: 1-line block ×3, first 2 shown]
	v_mul_u32_u24_e32 v25, 0x147b, v26
	v_sub_nc_u16 v26, v0, v27
	v_mul_u32_u24_e32 v27, 0x147b, v22
	v_mul_u32_u24_e32 v28, 0x147b, v21
	;; [unrolled: 1-line block ×3, first 2 shown]
	v_lshrrev_b32_e32 v34, 17, v25
	v_and_b32_e32 v35, 0xff, v26
	v_lshrrev_b32_e32 v36, 17, v27
	v_lshrrev_b32_e32 v25, 17, v28
	;; [unrolled: 1-line block ×3, first 2 shown]
	v_mul_lo_u16 v26, v34, 50
	v_lshlrev_b32_e32 v27, 3, v35
	v_mul_lo_u16 v28, v36, 50
	v_mul_lo_u16 v25, v25, 50
	v_lshlrev_b32_e32 v35, 2, v35
	v_sub_nc_u16 v29, v16, v26
	global_load_b64 v[26:27], v27, s[4:5] offset:180
	v_sub_nc_u16 v28, v15, v28
	v_sub_nc_u16 v25, v1, v25
	v_mul_u32_u24_e32 v34, 0x258, v34
	v_and_b32_e32 v37, 0xffff, v29
	v_add3_u32 v24, 0, v24, v35
	v_and_b32_e32 v38, 0xffff, v28
	v_and_b32_e32 v25, 0xffff, v25
	v_mul_u32_u24_e32 v36, 0x258, v36
	v_lshlrev_b32_e32 v28, 3, v37
	v_lshlrev_b32_e32 v35, 2, v37
	;; [unrolled: 1-line block ×5, first 2 shown]
	s_clause 0x2
	global_load_b64 v[28:29], v28, s[4:5] offset:180
	global_load_b64 v[30:31], v30, s[4:5] offset:180
	;; [unrolled: 1-line block ×3, first 2 shown]
	v_add3_u32 v34, 0, v34, v35
	s_wait_dscnt 0x1
	v_lshrrev_b32_e32 v44, 16, v8
	v_lshrrev_b32_e32 v45, 16, v11
	;; [unrolled: 1-line block ×3, first 2 shown]
	s_wait_dscnt 0x0
	v_lshrrev_b32_e32 v47, 16, v12
	v_add3_u32 v36, 0, v36, v37
	v_lshrrev_b32_e32 v40, 16, v7
	v_lshrrev_b32_e32 v41, 16, v4
	global_wb scope:SCOPE_SE
	s_wait_loadcnt 0x0
	s_barrier_signal -1
	s_barrier_wait -1
	global_inv scope:SCOPE_SE
	v_lshrrev_b32_e32 v38, 16, v26
	v_lshrrev_b32_e32 v48, 16, v27
	s_delay_alu instid0(VALU_DEP_2) | instskip(SKIP_1) | instid1(VALU_DEP_3)
	v_mul_f16_e32 v35, v38, v42
	v_mul_f16_e32 v38, v38, v5
	;; [unrolled: 1-line block ×4, first 2 shown]
	s_delay_alu instid0(VALU_DEP_4) | instskip(NEXT) | instid1(VALU_DEP_4)
	v_fmac_f16_e32 v35, v26, v5
	v_fma_f16 v5, v26, v42, -v38
	s_delay_alu instid0(VALU_DEP_4) | instskip(NEXT) | instid1(VALU_DEP_4)
	v_fmac_f16_e32 v49, v27, v10
	v_fma_f16 v10, v27, v43, -v48
	v_lshrrev_b32_e32 v26, 16, v28
	v_lshrrev_b32_e32 v27, 16, v29
	;; [unrolled: 1-line block ×6, first 2 shown]
	v_add_f16_e32 v50, v35, v49
	v_sub_f16_e32 v51, v5, v10
	v_add_f16_e32 v52, v39, v5
	v_add_f16_e32 v5, v5, v10
	v_mul_f16_e32 v53, v26, v44
	v_mul_f16_e32 v26, v26, v8
	;; [unrolled: 1-line block ×8, first 2 shown]
	v_add_f16_e32 v48, v6, v35
	v_sub_f16_e32 v35, v35, v49
	v_mul_f16_e32 v57, v23, v42
	v_mul_f16_e32 v42, v19, v42
	v_mul_f16_e32 v58, v17, v43
	v_mul_f16_e32 v43, v13, v43
	v_fma_f16 v6, -0.5, v50, v6
	v_fmac_f16_e32 v39, -0.5, v5
	v_fmac_f16_e32 v53, v28, v8
	v_fma_f16 v5, v28, v44, -v26
	v_fmac_f16_e32 v54, v29, v11
	v_fma_f16 v8, v29, v45, -v27
	;; [unrolled: 2-line block ×4, first 2 shown]
	v_add_f16_e32 v48, v48, v49
	v_add_f16_e32 v10, v52, v10
	v_fmac_f16_e32 v57, v19, v32
	v_fma_f16 v12, v23, v32, -v42
	v_fmac_f16_e32 v58, v13, v33
	v_fma_f16 v13, v17, v33, -v43
	v_fmamk_f16 v17, v51, 0xbaee, v6
	v_fmamk_f16 v19, v35, 0x3aee, v39
	v_add_f16_e32 v26, v53, v54
	v_sub_f16_e32 v27, v5, v8
	v_add_f16_e32 v28, v40, v5
	v_add_f16_e32 v5, v5, v8
	v_fmac_f16_e32 v6, 0x3aee, v51
	v_fmac_f16_e32 v39, 0xbaee, v35
	v_add_f16_e32 v31, v55, v56
	v_sub_f16_e32 v32, v9, v11
	v_add_f16_e32 v33, v41, v9
	v_add_f16_e32 v9, v9, v11
	v_pack_b32_f16 v10, v48, v10
	v_add_f16_e32 v23, v7, v53
	v_sub_f16_e32 v29, v53, v54
	v_add_f16_e32 v38, v57, v58
	v_sub_f16_e32 v42, v12, v13
	v_add_f16_e32 v43, v20, v12
	v_add_f16_e32 v12, v12, v13
	v_pack_b32_f16 v45, v17, v19
	v_fmac_f16_e32 v7, -0.5, v26
	v_fmac_f16_e32 v40, -0.5, v5
	v_pack_b32_f16 v6, v6, v39
	v_add_f16_e32 v30, v4, v55
	v_sub_f16_e32 v35, v55, v56
	v_fmac_f16_e32 v4, -0.5, v31
	v_fmac_f16_e32 v41, -0.5, v9
	v_add_f16_e32 v37, v18, v57
	v_sub_f16_e32 v44, v57, v58
	v_add_f16_e32 v39, v23, v54
	v_add_f16_e32 v8, v28, v8
	v_fmac_f16_e32 v18, -0.5, v38
	v_fmac_f16_e32 v20, -0.5, v12
	ds_store_2addr_b32 v24, v10, v45 offset1:50
	ds_store_b32 v24, v6 offset:400
	v_fmamk_f16 v6, v27, 0xbaee, v7
	v_fmamk_f16 v9, v29, 0x3aee, v40
	v_fmac_f16_e32 v7, 0x3aee, v27
	v_fmac_f16_e32 v40, 0xbaee, v29
	v_add_f16_e32 v5, v30, v56
	v_add_f16_e32 v11, v33, v11
	v_fmamk_f16 v10, v32, 0xbaee, v4
	v_fmamk_f16 v12, v35, 0x3aee, v41
	v_fmac_f16_e32 v4, 0x3aee, v32
	v_fmac_f16_e32 v41, 0xbaee, v35
	v_add_f16_e32 v17, v37, v58
	v_add_f16_e32 v19, v43, v13
	v_fmamk_f16 v23, v42, 0xbaee, v18
	v_fmac_f16_e32 v18, 0x3aee, v42
	v_fmamk_f16 v24, v44, 0x3aee, v20
	v_pack_b32_f16 v8, v39, v8
	v_pack_b32_f16 v6, v6, v9
	v_fmac_f16_e32 v20, 0xbaee, v44
	v_pack_b32_f16 v7, v7, v40
	v_pack_b32_f16 v5, v5, v11
	;; [unrolled: 1-line block ×4, first 2 shown]
	ds_store_2addr_b32 v34, v8, v6 offset1:50
	ds_store_b32 v34, v7 offset:400
	ds_store_2addr_b32 v36, v5, v9 offset1:50
	ds_store_b32 v36, v4 offset:400
	s_and_saveexec_b32 s1, s0
	s_cbranch_execz .LBB0_21
; %bb.20:
	v_lshl_add_u32 v4, v25, 2, 0
	v_perm_b32 v5, v19, v17, 0x5040100
	v_perm_b32 v6, v24, v23, 0x5040100
	;; [unrolled: 1-line block ×3, first 2 shown]
	s_delay_alu instid0(VALU_DEP_4)
	v_add_nc_u32_e32 v7, 0x1000, v4
	ds_store_2addr_b32 v7, v5, v6 offset0:176 offset1:226
	ds_store_b32 v4, v8 offset:5200
.LBB0_21:
	s_wait_alu 0xfffe
	s_or_b32 exec_lo, exec_lo, s1
	v_add_nc_u32_e32 v4, 0x400, v14
	v_add_nc_u32_e32 v8, 0xe00, v14
	;; [unrolled: 1-line block ×3, first 2 shown]
	global_wb scope:SCOPE_SE
	s_wait_dscnt 0x0
	s_barrier_signal -1
	s_barrier_wait -1
	global_inv scope:SCOPE_SE
	ds_load_2addr_b32 v[6:7], v14 offset1:135
	ds_load_2addr_b32 v[4:5], v4 offset0:14 offset1:194
	ds_load_2addr_b32 v[12:13], v8 offset0:4 offset1:139
	;; [unrolled: 1-line block ×3, first 2 shown]
	ds_load_b32 v25, v14 offset:4680
	s_and_saveexec_b32 s1, s0
	s_cbranch_execz .LBB0_23
; %bb.22:
	ds_load_b32 v17, v14 offset:1620
	ds_load_b32 v18, v14 offset:5220
	ds_load_b32 v23, v14 offset:3420
	s_wait_dscnt 0x2
	v_lshrrev_b32_e32 v19, 16, v17
	s_wait_dscnt 0x1
	v_lshrrev_b32_e32 v20, 16, v18
	;; [unrolled: 2-line block ×3, first 2 shown]
.LBB0_23:
	s_wait_alu 0xfffe
	s_or_b32 exec_lo, exec_lo, s1
	v_dual_mov_b32 v27, 0 :: v_dual_lshlrev_b32 v26, 1, v0
	v_mul_u32_u24_e32 v22, 0xda75, v22
	v_add_nc_u32_e32 v28, -15, v0
	v_mul_u32_u24_e32 v21, 0xda75, v21
	v_cmp_gt_u32_e64 s1, 15, v0
	v_lshlrev_b64_e32 v[8:9], 2, v[26:27]
	v_lshrrev_b32_e32 v34, 22, v22
	s_wait_dscnt 0x3
	v_lshrrev_b32_e32 v39, 16, v5
	v_lshrrev_b32_e32 v21, 22, v21
	s_wait_alu 0xf1ff
	v_cndmask_b32_e64 v33, v28, v16, s1
	s_wait_dscnt 0x2
	v_lshrrev_b32_e32 v40, 16, v12
	v_add_co_u32 v8, s1, s4, v8
	v_mul_lo_u16 v28, 0x96, v34
	v_mul_lo_u16 v29, 0x96, v21
	v_lshlrev_b32_e32 v26, 1, v33
	s_wait_alu 0xf1ff
	v_add_co_ci_u32_e64 v9, s1, s5, v9, s1
	v_sub_nc_u16 v30, v15, v28
	v_sub_nc_u16 v29, v1, v29
	v_lshlrev_b64_e32 v[27:28], 2, v[26:27]
	global_load_b64 v[21:22], v[8:9], off offset:580
	v_lshlrev_b32_e32 v33, 2, v33
	v_and_b32_e32 v35, 0xffff, v30
	v_and_b32_e32 v26, 0xffff, v29
	v_mul_u32_u24_e32 v34, 0x708, v34
	v_add_co_u32 v27, s1, s4, v27
	s_wait_alu 0xf1ff
	v_add_co_ci_u32_e64 v28, s1, s5, v28, s1
	v_lshlrev_b32_e32 v29, 3, v35
	v_lshlrev_b32_e32 v31, 3, v26
	s_clause 0x2
	global_load_b64 v[27:28], v[27:28], off offset:580
	global_load_b64 v[29:30], v29, s[4:5] offset:580
	global_load_b64 v[31:32], v31, s[4:5] offset:580
	v_cmp_lt_u32_e64 s1, 14, v0
	v_lshlrev_b32_e32 v35, 2, v35
	s_wait_dscnt 0x1
	v_lshrrev_b32_e32 v41, 16, v10
	v_lshrrev_b32_e32 v43, 16, v13
	;; [unrolled: 1-line block ×3, first 2 shown]
	s_wait_alu 0xf1ff
	v_cndmask_b32_e64 v42, 0, 0x708, s1
	v_lshrrev_b32_e32 v44, 16, v11
	s_wait_dscnt 0x0
	v_lshrrev_b32_e32 v45, 16, v25
	v_add3_u32 v34, 0, v34, v35
	v_lshrrev_b32_e32 v37, 16, v7
	v_add3_u32 v33, 0, v42, v33
	v_lshrrev_b32_e32 v38, 16, v4
	global_wb scope:SCOPE_SE
	s_wait_loadcnt 0x0
	s_barrier_signal -1
	s_barrier_wait -1
	global_inv scope:SCOPE_SE
	v_lshrrev_b32_e32 v42, 16, v21
	v_lshrrev_b32_e32 v46, 16, v22
	s_delay_alu instid0(VALU_DEP_2) | instskip(SKIP_1) | instid1(VALU_DEP_3)
	v_mul_f16_e32 v47, v42, v39
	v_mul_f16_e32 v42, v42, v5
	;; [unrolled: 1-line block ×4, first 2 shown]
	s_delay_alu instid0(VALU_DEP_4) | instskip(NEXT) | instid1(VALU_DEP_4)
	v_fmac_f16_e32 v47, v21, v5
	v_fma_f16 v5, v21, v39, -v42
	s_delay_alu instid0(VALU_DEP_4) | instskip(NEXT) | instid1(VALU_DEP_4)
	v_fmac_f16_e32 v48, v22, v12
	v_fma_f16 v12, v22, v40, -v46
	v_lshrrev_b32_e32 v21, 16, v27
	v_lshrrev_b32_e32 v22, 16, v28
	v_lshrrev_b32_e32 v35, 16, v29
	v_lshrrev_b32_e32 v39, 16, v30
	v_lshrrev_b32_e32 v40, 16, v31
	v_lshrrev_b32_e32 v42, 16, v32
	v_mul_f16_e32 v46, v21, v41
	v_mul_f16_e32 v21, v21, v10
	;; [unrolled: 1-line block ×4, first 2 shown]
	v_add_f16_e32 v51, v47, v48
	v_sub_f16_e32 v52, v5, v12
	v_add_f16_e32 v53, v36, v5
	v_add_f16_e32 v5, v5, v12
	v_mul_f16_e32 v54, v35, v44
	v_mul_f16_e32 v35, v35, v11
	;; [unrolled: 1-line block ×8, first 2 shown]
	v_fmac_f16_e32 v46, v27, v10
	v_fma_f16 v10, v27, v41, -v21
	v_fmac_f16_e32 v49, v28, v13
	v_fma_f16 v13, v28, v43, -v22
	v_add_f16_e32 v50, v6, v47
	v_sub_f16_e32 v47, v47, v48
	v_fma_f16 v6, -0.5, v51, v6
	v_fmac_f16_e32 v36, -0.5, v5
	v_fmac_f16_e32 v54, v29, v11
	v_fma_f16 v5, v29, v44, -v35
	v_fmac_f16_e32 v55, v30, v25
	v_fma_f16 v11, v30, v45, -v39
	;; [unrolled: 2-line block ×4, first 2 shown]
	v_add_f16_e32 v25, v46, v49
	v_sub_f16_e32 v27, v10, v13
	v_add_f16_e32 v28, v37, v10
	v_add_f16_e32 v10, v10, v13
	;; [unrolled: 1-line block ×4, first 2 shown]
	v_fmamk_f16 v18, v52, 0xbaee, v6
	v_fmamk_f16 v23, v47, 0x3aee, v36
	v_add_f16_e32 v30, v54, v55
	v_sub_f16_e32 v31, v5, v11
	v_add_f16_e32 v32, v38, v5
	v_add_f16_e32 v5, v5, v11
	v_fmac_f16_e32 v6, 0x3aee, v52
	v_fmac_f16_e32 v36, 0xbaee, v47
	v_add_f16_e32 v24, v7, v46
	v_sub_f16_e32 v29, v46, v49
	v_add_f16_e32 v40, v56, v57
	v_sub_f16_e32 v41, v22, v20
	v_add_f16_e32 v42, v19, v22
	v_add_f16_e32 v22, v22, v20
	v_fmac_f16_e32 v7, -0.5, v25
	v_fmac_f16_e32 v37, -0.5, v10
	v_pack_b32_f16 v12, v21, v12
	v_add_f16_e32 v21, v4, v54
	v_sub_f16_e32 v35, v54, v55
	v_pack_b32_f16 v10, v18, v23
	v_fmac_f16_e32 v4, -0.5, v30
	v_fmac_f16_e32 v38, -0.5, v5
	v_pack_b32_f16 v6, v6, v36
	v_add_f16_e32 v39, v17, v56
	v_sub_f16_e32 v43, v56, v57
	v_add_f16_e32 v24, v24, v49
	v_add_f16_e32 v13, v28, v13
	v_fmac_f16_e32 v17, -0.5, v40
	v_fmac_f16_e32 v19, -0.5, v22
	v_fmamk_f16 v5, v27, 0xbaee, v7
	v_fmamk_f16 v25, v29, 0x3aee, v37
	v_fmac_f16_e32 v7, 0x3aee, v27
	v_fmac_f16_e32 v37, 0xbaee, v29
	v_add_f16_e32 v23, v21, v55
	v_add_f16_e32 v11, v32, v11
	ds_store_2addr_b32 v14, v12, v10 offset1:150
	ds_store_b32 v14, v6 offset:1200
	v_fmamk_f16 v10, v31, 0xbaee, v4
	v_fmamk_f16 v12, v35, 0x3aee, v38
	v_fmac_f16_e32 v4, 0x3aee, v31
	v_fmac_f16_e32 v38, 0xbaee, v35
	v_add_f16_e32 v18, v39, v57
	v_add_f16_e32 v20, v42, v20
	v_pack_b32_f16 v6, v24, v13
	v_fmamk_f16 v21, v41, 0xbaee, v17
	v_fmac_f16_e32 v17, 0x3aee, v41
	v_fmamk_f16 v22, v43, 0x3aee, v19
	v_pack_b32_f16 v5, v5, v25
	v_fmac_f16_e32 v19, 0xbaee, v43
	v_pack_b32_f16 v7, v7, v37
	v_pack_b32_f16 v11, v23, v11
	;; [unrolled: 1-line block ×4, first 2 shown]
	ds_store_2addr_b32 v33, v6, v5 offset1:150
	ds_store_b32 v33, v7 offset:1200
	ds_store_2addr_b32 v34, v11, v10 offset1:150
	ds_store_b32 v34, v4 offset:1200
	s_and_saveexec_b32 s1, s0
	s_cbranch_execz .LBB0_25
; %bb.24:
	v_lshl_add_u32 v4, v26, 2, 0
	v_perm_b32 v5, v20, v18, 0x5040100
	v_perm_b32 v6, v22, v21, 0x5040100
	;; [unrolled: 1-line block ×3, first 2 shown]
	s_delay_alu instid0(VALU_DEP_4)
	v_add_nc_u32_e32 v7, 0xe00, v4
	ds_store_2addr_b32 v7, v5, v6 offset0:4 offset1:154
	ds_store_b32 v4, v10 offset:4800
.LBB0_25:
	s_wait_alu 0xfffe
	s_or_b32 exec_lo, exec_lo, s1
	v_add_nc_u32_e32 v23, 0x400, v14
	v_add_nc_u32_e32 v25, 0xe00, v14
	;; [unrolled: 1-line block ×3, first 2 shown]
	global_wb scope:SCOPE_SE
	s_wait_dscnt 0x0
	s_barrier_signal -1
	s_barrier_wait -1
	global_inv scope:SCOPE_SE
	ds_load_2addr_b32 v[6:7], v14 offset1:135
	ds_load_2addr_b32 v[4:5], v23 offset0:14 offset1:194
	ds_load_2addr_b32 v[12:13], v25 offset0:4 offset1:139
	;; [unrolled: 1-line block ×3, first 2 shown]
	ds_load_b32 v26, v14 offset:4680
	s_and_saveexec_b32 s1, s0
	s_cbranch_execz .LBB0_27
; %bb.26:
	ds_load_b32 v18, v14 offset:1620
	ds_load_b32 v17, v14 offset:5220
	;; [unrolled: 1-line block ×3, first 2 shown]
	s_wait_dscnt 0x2
	v_lshrrev_b32_e32 v20, 16, v18
	s_wait_dscnt 0x1
	v_lshrrev_b32_e32 v19, 16, v17
	;; [unrolled: 2-line block ×3, first 2 shown]
.LBB0_27:
	s_wait_alu 0xfffe
	s_or_b32 exec_lo, exec_lo, s1
	global_load_b64 v[27:28], v[8:9], off offset:1780
	v_dual_mov_b32 v9, 0 :: v_dual_lshlrev_b32 v8, 1, v16
	s_wait_dscnt 0x3
	v_lshrrev_b32_e32 v36, 16, v5
	s_wait_dscnt 0x2
	v_lshrrev_b32_e32 v38, 16, v12
	v_lshrrev_b32_e32 v35, 16, v13
	s_wait_dscnt 0x1
	v_lshrrev_b32_e32 v40, 16, v10
	v_lshlrev_b64_e32 v[29:30], 2, v[8:9]
	v_lshlrev_b32_e32 v8, 1, v15
	s_wait_dscnt 0x0
	v_lshrrev_b32_e32 v33, 16, v26
	v_lshrrev_b32_e32 v34, 16, v11
	;; [unrolled: 1-line block ×4, first 2 shown]
	v_add_co_u32 v15, s1, s4, v29
	s_wait_alu 0xf1ff
	v_add_co_ci_u32_e64 v16, s1, s5, v30, s1
	v_lshlrev_b64_e32 v[29:30], 2, v[8:9]
	v_lshrrev_b32_e32 v8, 16, v6
	global_load_b64 v[15:16], v[15:16], off offset:1780
	v_add_co_u32 v29, s1, s4, v29
	s_wait_alu 0xf1ff
	v_add_co_ci_u32_e64 v30, s1, s5, v30, s1
	global_load_b64 v[29:30], v[29:30], off offset:1780
	global_wb scope:SCOPE_SE
	s_wait_loadcnt 0x0
	s_barrier_signal -1
	s_barrier_wait -1
	global_inv scope:SCOPE_SE
	v_lshrrev_b32_e32 v37, 16, v27
	v_lshrrev_b32_e32 v39, 16, v28
	s_delay_alu instid0(VALU_DEP_2) | instskip(SKIP_1) | instid1(VALU_DEP_3)
	v_mul_f16_e32 v41, v37, v36
	v_mul_f16_e32 v37, v37, v5
	;; [unrolled: 1-line block ×4, first 2 shown]
	s_delay_alu instid0(VALU_DEP_4) | instskip(NEXT) | instid1(VALU_DEP_4)
	v_fmac_f16_e32 v41, v27, v5
	v_fma_f16 v5, v27, v36, -v37
	s_delay_alu instid0(VALU_DEP_4) | instskip(NEXT) | instid1(VALU_DEP_4)
	v_fmac_f16_e32 v42, v28, v12
	v_fma_f16 v12, v28, v38, -v39
	s_delay_alu instid0(VALU_DEP_4) | instskip(NEXT) | instid1(VALU_DEP_4)
	v_add_f16_e32 v27, v6, v41
	v_add_f16_e32 v37, v8, v5
	s_delay_alu instid0(VALU_DEP_4) | instskip(NEXT) | instid1(VALU_DEP_4)
	v_add_f16_e32 v28, v41, v42
	v_sub_f16_e32 v36, v5, v12
	v_add_f16_e32 v5, v5, v12
	v_sub_f16_e32 v38, v41, v42
	v_lshrrev_b32_e32 v39, 16, v15
	v_lshrrev_b32_e32 v41, 16, v16
	v_add_f16_e32 v27, v27, v42
	v_fma_f16 v6, -0.5, v28, v6
	v_add_f16_e32 v12, v37, v12
	v_fmac_f16_e32 v8, -0.5, v5
	v_mul_f16_e32 v5, v39, v40
	v_mul_f16_e32 v28, v39, v10
	;; [unrolled: 1-line block ×4, first 2 shown]
	v_lshrrev_b32_e32 v41, 16, v29
	v_lshrrev_b32_e32 v42, 16, v30
	v_fmamk_f16 v43, v36, 0xbaee, v6
	v_fmac_f16_e32 v6, 0x3aee, v36
	v_fmamk_f16 v36, v38, 0x3aee, v8
	v_fmac_f16_e32 v8, 0xbaee, v38
	v_pack_b32_f16 v12, v27, v12
	v_fmac_f16_e32 v5, v15, v10
	v_fma_f16 v10, v15, v40, -v28
	v_fmac_f16_e32 v37, v16, v13
	v_fma_f16 v13, v16, v35, -v39
	v_mul_f16_e32 v15, v41, v34
	v_mul_f16_e32 v16, v41, v11
	;; [unrolled: 1-line block ×4, first 2 shown]
	v_pack_b32_f16 v6, v6, v8
	v_fmac_f16_e32 v15, v29, v11
	v_fma_f16 v8, v29, v34, -v16
	v_fmac_f16_e32 v27, v30, v26
	v_fma_f16 v11, v30, v33, -v28
	v_add_f16_e32 v26, v5, v37
	v_add_f16_e32 v29, v31, v10
	v_sub_f16_e32 v28, v10, v13
	v_add_f16_e32 v10, v10, v13
	v_add_f16_e32 v16, v7, v5
	v_fmac_f16_e32 v7, -0.5, v26
	v_add_f16_e32 v13, v29, v13
	v_add_f16_e32 v26, v15, v27
	v_sub_f16_e32 v29, v8, v11
	v_add_f16_e32 v30, v32, v8
	v_add_f16_e32 v8, v8, v11
	v_sub_f16_e32 v5, v5, v37
	v_fmac_f16_e32 v31, -0.5, v10
	v_add_f16_e32 v10, v4, v15
	v_add_f16_e32 v16, v16, v37
	v_sub_f16_e32 v15, v15, v27
	v_fmac_f16_e32 v4, -0.5, v26
	v_fmac_f16_e32 v32, -0.5, v8
	v_fmamk_f16 v33, v28, 0xbaee, v7
	v_fmac_f16_e32 v7, 0x3aee, v28
	v_fmamk_f16 v28, v5, 0x3aee, v31
	v_fmac_f16_e32 v31, 0xbaee, v5
	v_add_f16_e32 v5, v10, v27
	v_add_f16_e32 v8, v30, v11
	v_pack_b32_f16 v10, v16, v13
	v_fmamk_f16 v11, v29, 0xbaee, v4
	v_fmamk_f16 v13, v15, 0x3aee, v32
	v_fmac_f16_e32 v4, 0x3aee, v29
	v_fmac_f16_e32 v32, 0xbaee, v15
	v_pack_b32_f16 v7, v7, v31
	v_pack_b32_f16 v35, v43, v36
	;; [unrolled: 1-line block ×6, first 2 shown]
	ds_store_2addr_b32 v14, v12, v10 offset1:135
	ds_store_2addr_b32 v25, v6, v7 offset0:4 offset1:139
	ds_store_2addr_b32 v23, v5, v35 offset0:14 offset1:194
	ds_store_2addr_b32 v24, v15, v8 offset0:73 offset1:208
	ds_store_b32 v14, v4 offset:4680
	s_and_saveexec_b32 s1, s0
	s_cbranch_execz .LBB0_29
; %bb.28:
	v_subrev_nc_u32_e32 v4, 45, v0
	s_delay_alu instid0(VALU_DEP_1) | instskip(NEXT) | instid1(VALU_DEP_1)
	v_cndmask_b32_e64 v1, v4, v1, s0
	v_lshlrev_b32_e32 v8, 1, v1
	s_delay_alu instid0(VALU_DEP_1) | instskip(NEXT) | instid1(VALU_DEP_1)
	v_lshlrev_b64_e32 v[4:5], 2, v[8:9]
	v_add_co_u32 v4, s0, s4, v4
	s_wait_alu 0xf1ff
	s_delay_alu instid0(VALU_DEP_2) | instskip(SKIP_4) | instid1(VALU_DEP_2)
	v_add_co_ci_u32_e64 v5, s0, s5, v5, s0
	global_load_b64 v[4:5], v[4:5], off offset:1780
	s_wait_loadcnt 0x0
	v_lshrrev_b32_e32 v1, 16, v4
	v_lshrrev_b32_e32 v6, 16, v5
	v_mul_f16_e32 v7, v21, v1
	s_delay_alu instid0(VALU_DEP_2) | instskip(SKIP_2) | instid1(VALU_DEP_4)
	v_mul_f16_e32 v8, v17, v6
	v_mul_f16_e32 v1, v22, v1
	;; [unrolled: 1-line block ×3, first 2 shown]
	v_fma_f16 v7, v22, v4, -v7
	s_delay_alu instid0(VALU_DEP_4) | instskip(NEXT) | instid1(VALU_DEP_4)
	v_fma_f16 v8, v19, v5, -v8
	v_fmac_f16_e32 v1, v21, v4
	s_delay_alu instid0(VALU_DEP_4) | instskip(NEXT) | instid1(VALU_DEP_4)
	v_fmac_f16_e32 v6, v17, v5
	v_add_f16_e32 v10, v20, v7
	s_delay_alu instid0(VALU_DEP_4) | instskip(SKIP_1) | instid1(VALU_DEP_4)
	v_add_f16_e32 v4, v7, v8
	v_sub_f16_e32 v7, v7, v8
	v_add_f16_e32 v9, v1, v6
	v_sub_f16_e32 v5, v1, v6
	v_add_f16_e32 v1, v18, v1
	v_fma_f16 v4, -0.5, v4, v20
	v_add_f16_e32 v8, v10, v8
	v_fma_f16 v9, -0.5, v9, v18
	s_delay_alu instid0(VALU_DEP_4) | instskip(NEXT) | instid1(VALU_DEP_4)
	v_add_f16_e32 v1, v1, v6
	v_fmamk_f16 v6, v5, 0xbaee, v4
	v_fmac_f16_e32 v4, 0x3aee, v5
	s_delay_alu instid0(VALU_DEP_4) | instskip(SKIP_2) | instid1(VALU_DEP_3)
	v_fmamk_f16 v5, v7, 0x3aee, v9
	v_fmac_f16_e32 v9, 0xbaee, v7
	v_pack_b32_f16 v1, v1, v8
	v_pack_b32_f16 v5, v5, v6
	s_delay_alu instid0(VALU_DEP_3)
	v_pack_b32_f16 v4, v9, v4
	ds_store_b32 v14, v1 offset:1620
	ds_store_b32 v14, v4 offset:3420
	;; [unrolled: 1-line block ×3, first 2 shown]
.LBB0_29:
	s_wait_alu 0xfffe
	s_or_b32 exec_lo, exec_lo, s1
	global_wb scope:SCOPE_SE
	s_wait_dscnt 0x0
	s_barrier_signal -1
	s_barrier_wait -1
	global_inv scope:SCOPE_SE
	s_and_saveexec_b32 s0, vcc_lo
	s_cbranch_execz .LBB0_31
; %bb.30:
	v_mov_b32_e32 v1, 0
	v_add_co_u32 v30, vcc_lo, s8, v2
	v_add_nc_u32_e32 v2, 0x87, v0
	s_wait_alu 0xfffd
	v_add_co_ci_u32_e32 v31, vcc_lo, s9, v3, vcc_lo
	v_dual_mov_b32 v3, v1 :: v_dual_add_nc_u32 v8, 0x10e, v0
	v_lshlrev_b64_e32 v[4:5], 2, v[0:1]
	v_lshl_add_u32 v28, v0, 2, 0
	v_mov_b32_e32 v9, v1
	s_delay_alu instid0(VALU_DEP_4)
	v_lshlrev_b64_e32 v[2:3], 2, v[2:3]
	v_dual_mov_b32 v11, v1 :: v_dual_add_nc_u32 v10, 0x195, v0
	v_add_co_u32 v4, vcc_lo, v30, v4
	v_add_nc_u32_e32 v12, 0x400, v28
	v_lshlrev_b64_e32 v[8:9], 2, v[8:9]
	v_dual_mov_b32 v15, v1 :: v_dual_add_nc_u32 v14, 0x21c, v0
	s_wait_alu 0xfffd
	v_add_co_ci_u32_e32 v5, vcc_lo, v31, v5, vcc_lo
	v_add_co_u32 v2, vcc_lo, v30, v2
	v_lshlrev_b64_e32 v[10:11], 2, v[10:11]
	v_dual_mov_b32 v19, v1 :: v_dual_add_nc_u32 v16, 0x800, v28
	v_dual_mov_b32 v21, v1 :: v_dual_add_nc_u32 v18, 0x2a3, v0
	s_wait_alu 0xfffd
	v_add_co_ci_u32_e32 v3, vcc_lo, v31, v3, vcc_lo
	v_add_co_u32 v8, vcc_lo, v30, v8
	v_lshlrev_b64_e32 v[14:15], 2, v[14:15]
	v_dual_mov_b32 v23, v1 :: v_dual_add_nc_u32 v20, 0x32a, v0
	s_wait_alu 0xfffd
	v_add_co_ci_u32_e32 v9, vcc_lo, v31, v9, vcc_lo
	ds_load_2addr_b32 v[6:7], v28 offset1:135
	v_add_co_u32 v10, vcc_lo, v30, v10
	v_lshlrev_b64_e32 v[18:19], 2, v[18:19]
	v_dual_mov_b32 v27, v1 :: v_dual_add_nc_u32 v24, 0xc00, v28
	v_add_nc_u32_e32 v22, 0x3b1, v0
	ds_load_2addr_b32 v[12:13], v12 offset0:14 offset1:149
	s_wait_alu 0xfffd
	v_add_co_ci_u32_e32 v11, vcc_lo, v31, v11, vcc_lo
	v_add_co_u32 v14, vcc_lo, v30, v14
	v_lshlrev_b64_e32 v[20:21], 2, v[20:21]
	v_add_nc_u32_e32 v28, 0x1000, v28
	ds_load_2addr_b32 v[16:17], v16 offset0:28 offset1:163
	v_add_nc_u32_e32 v26, 0x438, v0
	s_wait_alu 0xfffd
	v_add_co_ci_u32_e32 v15, vcc_lo, v31, v15, vcc_lo
	v_add_co_u32 v18, vcc_lo, v30, v18
	ds_load_2addr_b32 v[24:25], v24 offset0:42 offset1:177
	v_lshlrev_b64_e32 v[22:23], 2, v[22:23]
	v_add_nc_u32_e32 v0, 0x4bf, v0
	s_wait_alu 0xfffd
	v_add_co_ci_u32_e32 v19, vcc_lo, v31, v19, vcc_lo
	ds_load_2addr_b32 v[28:29], v28 offset0:56 offset1:191
	v_add_co_u32 v20, vcc_lo, v30, v20
	v_lshlrev_b64_e32 v[26:27], 2, v[26:27]
	s_wait_alu 0xfffd
	v_add_co_ci_u32_e32 v21, vcc_lo, v31, v21, vcc_lo
	v_add_co_u32 v22, vcc_lo, v30, v22
	v_lshlrev_b64_e32 v[0:1], 2, v[0:1]
	s_wait_alu 0xfffd
	v_add_co_ci_u32_e32 v23, vcc_lo, v31, v23, vcc_lo
	v_add_co_u32 v26, vcc_lo, v30, v26
	s_wait_alu 0xfffd
	v_add_co_ci_u32_e32 v27, vcc_lo, v31, v27, vcc_lo
	v_add_co_u32 v0, vcc_lo, v30, v0
	s_wait_alu 0xfffd
	v_add_co_ci_u32_e32 v1, vcc_lo, v31, v1, vcc_lo
	s_wait_dscnt 0x4
	s_clause 0x1
	global_store_b32 v[4:5], v6, off
	global_store_b32 v[2:3], v7, off
	s_wait_dscnt 0x3
	s_clause 0x1
	global_store_b32 v[8:9], v12, off
	global_store_b32 v[10:11], v13, off
	;; [unrolled: 4-line block ×5, first 2 shown]
.LBB0_31:
	s_nop 0
	s_sendmsg sendmsg(MSG_DEALLOC_VGPRS)
	s_endpgm
	.section	.rodata,"a",@progbits
	.p2align	6, 0x0
	.amdhsa_kernel fft_rtc_back_len1350_factors_5_10_3_3_3_wgs_135_tpt_135_halfLds_half_ip_CI_unitstride_sbrr_C2R_dirReg
		.amdhsa_group_segment_fixed_size 0
		.amdhsa_private_segment_fixed_size 0
		.amdhsa_kernarg_size 88
		.amdhsa_user_sgpr_count 2
		.amdhsa_user_sgpr_dispatch_ptr 0
		.amdhsa_user_sgpr_queue_ptr 0
		.amdhsa_user_sgpr_kernarg_segment_ptr 1
		.amdhsa_user_sgpr_dispatch_id 0
		.amdhsa_user_sgpr_private_segment_size 0
		.amdhsa_wavefront_size32 1
		.amdhsa_uses_dynamic_stack 0
		.amdhsa_enable_private_segment 0
		.amdhsa_system_sgpr_workgroup_id_x 1
		.amdhsa_system_sgpr_workgroup_id_y 0
		.amdhsa_system_sgpr_workgroup_id_z 0
		.amdhsa_system_sgpr_workgroup_info 0
		.amdhsa_system_vgpr_workitem_id 0
		.amdhsa_next_free_vgpr 61
		.amdhsa_next_free_sgpr 32
		.amdhsa_reserve_vcc 1
		.amdhsa_float_round_mode_32 0
		.amdhsa_float_round_mode_16_64 0
		.amdhsa_float_denorm_mode_32 3
		.amdhsa_float_denorm_mode_16_64 3
		.amdhsa_fp16_overflow 0
		.amdhsa_workgroup_processor_mode 1
		.amdhsa_memory_ordered 1
		.amdhsa_forward_progress 0
		.amdhsa_round_robin_scheduling 0
		.amdhsa_exception_fp_ieee_invalid_op 0
		.amdhsa_exception_fp_denorm_src 0
		.amdhsa_exception_fp_ieee_div_zero 0
		.amdhsa_exception_fp_ieee_overflow 0
		.amdhsa_exception_fp_ieee_underflow 0
		.amdhsa_exception_fp_ieee_inexact 0
		.amdhsa_exception_int_div_zero 0
	.end_amdhsa_kernel
	.text
.Lfunc_end0:
	.size	fft_rtc_back_len1350_factors_5_10_3_3_3_wgs_135_tpt_135_halfLds_half_ip_CI_unitstride_sbrr_C2R_dirReg, .Lfunc_end0-fft_rtc_back_len1350_factors_5_10_3_3_3_wgs_135_tpt_135_halfLds_half_ip_CI_unitstride_sbrr_C2R_dirReg
                                        ; -- End function
	.section	.AMDGPU.csdata,"",@progbits
; Kernel info:
; codeLenInByte = 9408
; NumSgprs: 34
; NumVgprs: 61
; ScratchSize: 0
; MemoryBound: 0
; FloatMode: 240
; IeeeMode: 1
; LDSByteSize: 0 bytes/workgroup (compile time only)
; SGPRBlocks: 4
; VGPRBlocks: 7
; NumSGPRsForWavesPerEU: 34
; NumVGPRsForWavesPerEU: 61
; Occupancy: 15
; WaveLimiterHint : 1
; COMPUTE_PGM_RSRC2:SCRATCH_EN: 0
; COMPUTE_PGM_RSRC2:USER_SGPR: 2
; COMPUTE_PGM_RSRC2:TRAP_HANDLER: 0
; COMPUTE_PGM_RSRC2:TGID_X_EN: 1
; COMPUTE_PGM_RSRC2:TGID_Y_EN: 0
; COMPUTE_PGM_RSRC2:TGID_Z_EN: 0
; COMPUTE_PGM_RSRC2:TIDIG_COMP_CNT: 0
	.text
	.p2alignl 7, 3214868480
	.fill 96, 4, 3214868480
	.type	__hip_cuid_c42a2fa0566f5353,@object ; @__hip_cuid_c42a2fa0566f5353
	.section	.bss,"aw",@nobits
	.globl	__hip_cuid_c42a2fa0566f5353
__hip_cuid_c42a2fa0566f5353:
	.byte	0                               ; 0x0
	.size	__hip_cuid_c42a2fa0566f5353, 1

	.ident	"AMD clang version 19.0.0git (https://github.com/RadeonOpenCompute/llvm-project roc-6.4.0 25133 c7fe45cf4b819c5991fe208aaa96edf142730f1d)"
	.section	".note.GNU-stack","",@progbits
	.addrsig
	.addrsig_sym __hip_cuid_c42a2fa0566f5353
	.amdgpu_metadata
---
amdhsa.kernels:
  - .args:
      - .actual_access:  read_only
        .address_space:  global
        .offset:         0
        .size:           8
        .value_kind:     global_buffer
      - .offset:         8
        .size:           8
        .value_kind:     by_value
      - .actual_access:  read_only
        .address_space:  global
        .offset:         16
        .size:           8
        .value_kind:     global_buffer
      - .actual_access:  read_only
        .address_space:  global
        .offset:         24
        .size:           8
        .value_kind:     global_buffer
      - .offset:         32
        .size:           8
        .value_kind:     by_value
      - .actual_access:  read_only
        .address_space:  global
        .offset:         40
        .size:           8
        .value_kind:     global_buffer
      - .actual_access:  read_only
        .address_space:  global
        .offset:         48
        .size:           8
        .value_kind:     global_buffer
      - .offset:         56
        .size:           4
        .value_kind:     by_value
      - .actual_access:  read_only
        .address_space:  global
        .offset:         64
        .size:           8
        .value_kind:     global_buffer
      - .actual_access:  read_only
        .address_space:  global
        .offset:         72
        .size:           8
        .value_kind:     global_buffer
      - .address_space:  global
        .offset:         80
        .size:           8
        .value_kind:     global_buffer
    .group_segment_fixed_size: 0
    .kernarg_segment_align: 8
    .kernarg_segment_size: 88
    .language:       OpenCL C
    .language_version:
      - 2
      - 0
    .max_flat_workgroup_size: 135
    .name:           fft_rtc_back_len1350_factors_5_10_3_3_3_wgs_135_tpt_135_halfLds_half_ip_CI_unitstride_sbrr_C2R_dirReg
    .private_segment_fixed_size: 0
    .sgpr_count:     34
    .sgpr_spill_count: 0
    .symbol:         fft_rtc_back_len1350_factors_5_10_3_3_3_wgs_135_tpt_135_halfLds_half_ip_CI_unitstride_sbrr_C2R_dirReg.kd
    .uniform_work_group_size: 1
    .uses_dynamic_stack: false
    .vgpr_count:     61
    .vgpr_spill_count: 0
    .wavefront_size: 32
    .workgroup_processor_mode: 1
amdhsa.target:   amdgcn-amd-amdhsa--gfx1201
amdhsa.version:
  - 1
  - 2
...

	.end_amdgpu_metadata
